;; amdgpu-corpus repo=ROCm/rocFFT kind=compiled arch=gfx906 opt=O3
	.text
	.amdgcn_target "amdgcn-amd-amdhsa--gfx906"
	.amdhsa_code_object_version 6
	.protected	fft_rtc_back_len539_factors_11_7_7_wgs_231_tpt_77_halfLds_sp_ip_CI_unitstride_sbrr_dirReg ; -- Begin function fft_rtc_back_len539_factors_11_7_7_wgs_231_tpt_77_halfLds_sp_ip_CI_unitstride_sbrr_dirReg
	.globl	fft_rtc_back_len539_factors_11_7_7_wgs_231_tpt_77_halfLds_sp_ip_CI_unitstride_sbrr_dirReg
	.p2align	8
	.type	fft_rtc_back_len539_factors_11_7_7_wgs_231_tpt_77_halfLds_sp_ip_CI_unitstride_sbrr_dirReg,@function
fft_rtc_back_len539_factors_11_7_7_wgs_231_tpt_77_halfLds_sp_ip_CI_unitstride_sbrr_dirReg: ; @fft_rtc_back_len539_factors_11_7_7_wgs_231_tpt_77_halfLds_sp_ip_CI_unitstride_sbrr_dirReg
; %bb.0:
	v_mul_u32_u24_e32 v1, 0x354, v0
	s_load_dwordx2 s[2:3], s[4:5], 0x50
	s_load_dwordx4 s[8:11], s[4:5], 0x0
	s_load_dwordx2 s[12:13], s[4:5], 0x18
	v_lshrrev_b32_e32 v1, 16, v1
	v_mad_u64_u32 v[27:28], s[0:1], s6, 3, v[1:2]
	v_mov_b32_e32 v3, 0
	s_waitcnt lgkmcnt(0)
	v_cmp_lt_u64_e64 s[0:1], s[10:11], 2
	v_mov_b32_e32 v28, v3
	v_mov_b32_e32 v1, 0
	;; [unrolled: 1-line block ×3, first 2 shown]
	s_and_b64 vcc, exec, s[0:1]
	v_mov_b32_e32 v2, 0
	v_mov_b32_e32 v8, v28
	s_cbranch_vccnz .LBB0_8
; %bb.1:
	s_load_dwordx2 s[0:1], s[4:5], 0x10
	s_add_u32 s6, s12, 8
	s_addc_u32 s7, s13, 0
	v_mov_b32_e32 v1, 0
	v_mov_b32_e32 v5, v27
	s_waitcnt lgkmcnt(0)
	s_add_u32 s16, s0, 8
	s_mov_b64 s[14:15], 1
	v_mov_b32_e32 v2, 0
	s_addc_u32 s17, s1, 0
	v_mov_b32_e32 v6, v28
.LBB0_2:                                ; =>This Inner Loop Header: Depth=1
	s_load_dwordx2 s[18:19], s[16:17], 0x0
                                        ; implicit-def: $vgpr7_vgpr8
	s_waitcnt lgkmcnt(0)
	v_or_b32_e32 v4, s19, v6
	v_cmp_ne_u64_e32 vcc, 0, v[3:4]
	s_and_saveexec_b64 s[0:1], vcc
	s_xor_b64 s[20:21], exec, s[0:1]
	s_cbranch_execz .LBB0_4
; %bb.3:                                ;   in Loop: Header=BB0_2 Depth=1
	v_cvt_f32_u32_e32 v4, s18
	v_cvt_f32_u32_e32 v7, s19
	s_sub_u32 s0, 0, s18
	s_subb_u32 s1, 0, s19
	v_mac_f32_e32 v4, 0x4f800000, v7
	v_rcp_f32_e32 v4, v4
	v_mul_f32_e32 v4, 0x5f7ffffc, v4
	v_mul_f32_e32 v7, 0x2f800000, v4
	v_trunc_f32_e32 v7, v7
	v_mac_f32_e32 v4, 0xcf800000, v7
	v_cvt_u32_f32_e32 v7, v7
	v_cvt_u32_f32_e32 v4, v4
	v_mul_lo_u32 v8, s0, v7
	v_mul_hi_u32 v9, s0, v4
	v_mul_lo_u32 v11, s1, v4
	v_mul_lo_u32 v10, s0, v4
	v_add_u32_e32 v8, v9, v8
	v_add_u32_e32 v8, v8, v11
	v_mul_hi_u32 v9, v4, v10
	v_mul_lo_u32 v11, v4, v8
	v_mul_hi_u32 v13, v4, v8
	v_mul_hi_u32 v12, v7, v10
	v_mul_lo_u32 v10, v7, v10
	v_mul_hi_u32 v14, v7, v8
	v_add_co_u32_e32 v9, vcc, v9, v11
	v_addc_co_u32_e32 v11, vcc, 0, v13, vcc
	v_mul_lo_u32 v8, v7, v8
	v_add_co_u32_e32 v9, vcc, v9, v10
	v_addc_co_u32_e32 v9, vcc, v11, v12, vcc
	v_addc_co_u32_e32 v10, vcc, 0, v14, vcc
	v_add_co_u32_e32 v8, vcc, v9, v8
	v_addc_co_u32_e32 v9, vcc, 0, v10, vcc
	v_add_co_u32_e32 v4, vcc, v4, v8
	v_addc_co_u32_e32 v7, vcc, v7, v9, vcc
	v_mul_lo_u32 v8, s0, v7
	v_mul_hi_u32 v9, s0, v4
	v_mul_lo_u32 v10, s1, v4
	v_mul_lo_u32 v11, s0, v4
	v_add_u32_e32 v8, v9, v8
	v_add_u32_e32 v8, v8, v10
	v_mul_lo_u32 v12, v4, v8
	v_mul_hi_u32 v13, v4, v11
	v_mul_hi_u32 v14, v4, v8
	;; [unrolled: 1-line block ×3, first 2 shown]
	v_mul_lo_u32 v11, v7, v11
	v_mul_hi_u32 v9, v7, v8
	v_add_co_u32_e32 v12, vcc, v13, v12
	v_addc_co_u32_e32 v13, vcc, 0, v14, vcc
	v_mul_lo_u32 v8, v7, v8
	v_add_co_u32_e32 v11, vcc, v12, v11
	v_addc_co_u32_e32 v10, vcc, v13, v10, vcc
	v_addc_co_u32_e32 v9, vcc, 0, v9, vcc
	v_add_co_u32_e32 v8, vcc, v10, v8
	v_addc_co_u32_e32 v9, vcc, 0, v9, vcc
	v_add_co_u32_e32 v4, vcc, v4, v8
	v_addc_co_u32_e32 v9, vcc, v7, v9, vcc
	v_mad_u64_u32 v[7:8], s[0:1], v5, v9, 0
	v_mul_hi_u32 v10, v5, v4
	v_add_co_u32_e32 v11, vcc, v10, v7
	v_addc_co_u32_e32 v12, vcc, 0, v8, vcc
	v_mad_u64_u32 v[7:8], s[0:1], v6, v4, 0
	v_mad_u64_u32 v[9:10], s[0:1], v6, v9, 0
	v_add_co_u32_e32 v4, vcc, v11, v7
	v_addc_co_u32_e32 v4, vcc, v12, v8, vcc
	v_addc_co_u32_e32 v7, vcc, 0, v10, vcc
	v_add_co_u32_e32 v4, vcc, v4, v9
	v_addc_co_u32_e32 v9, vcc, 0, v7, vcc
	v_mul_lo_u32 v10, s19, v4
	v_mul_lo_u32 v11, s18, v9
	v_mad_u64_u32 v[7:8], s[0:1], s18, v4, 0
	v_add3_u32 v8, v8, v11, v10
	v_sub_u32_e32 v10, v6, v8
	v_mov_b32_e32 v11, s19
	v_sub_co_u32_e32 v7, vcc, v5, v7
	v_subb_co_u32_e64 v10, s[0:1], v10, v11, vcc
	v_subrev_co_u32_e64 v11, s[0:1], s18, v7
	v_subbrev_co_u32_e64 v10, s[0:1], 0, v10, s[0:1]
	v_cmp_le_u32_e64 s[0:1], s19, v10
	v_cndmask_b32_e64 v12, 0, -1, s[0:1]
	v_cmp_le_u32_e64 s[0:1], s18, v11
	v_cndmask_b32_e64 v11, 0, -1, s[0:1]
	v_cmp_eq_u32_e64 s[0:1], s19, v10
	v_cndmask_b32_e64 v10, v12, v11, s[0:1]
	v_add_co_u32_e64 v11, s[0:1], 2, v4
	v_addc_co_u32_e64 v12, s[0:1], 0, v9, s[0:1]
	v_add_co_u32_e64 v13, s[0:1], 1, v4
	v_addc_co_u32_e64 v14, s[0:1], 0, v9, s[0:1]
	v_subb_co_u32_e32 v8, vcc, v6, v8, vcc
	v_cmp_ne_u32_e64 s[0:1], 0, v10
	v_cmp_le_u32_e32 vcc, s19, v8
	v_cndmask_b32_e64 v10, v14, v12, s[0:1]
	v_cndmask_b32_e64 v12, 0, -1, vcc
	v_cmp_le_u32_e32 vcc, s18, v7
	v_cndmask_b32_e64 v7, 0, -1, vcc
	v_cmp_eq_u32_e32 vcc, s19, v8
	v_cndmask_b32_e32 v7, v12, v7, vcc
	v_cmp_ne_u32_e32 vcc, 0, v7
	v_cndmask_b32_e64 v7, v13, v11, s[0:1]
	v_cndmask_b32_e32 v8, v9, v10, vcc
	v_cndmask_b32_e32 v7, v4, v7, vcc
.LBB0_4:                                ;   in Loop: Header=BB0_2 Depth=1
	s_andn2_saveexec_b64 s[0:1], s[20:21]
	s_cbranch_execz .LBB0_6
; %bb.5:                                ;   in Loop: Header=BB0_2 Depth=1
	v_cvt_f32_u32_e32 v4, s18
	s_sub_i32 s20, 0, s18
	v_rcp_iflag_f32_e32 v4, v4
	v_mul_f32_e32 v4, 0x4f7ffffe, v4
	v_cvt_u32_f32_e32 v4, v4
	v_mul_lo_u32 v7, s20, v4
	v_mul_hi_u32 v7, v4, v7
	v_add_u32_e32 v4, v4, v7
	v_mul_hi_u32 v4, v5, v4
	v_mul_lo_u32 v7, v4, s18
	v_add_u32_e32 v8, 1, v4
	v_sub_u32_e32 v7, v5, v7
	v_subrev_u32_e32 v9, s18, v7
	v_cmp_le_u32_e32 vcc, s18, v7
	v_cndmask_b32_e32 v7, v7, v9, vcc
	v_cndmask_b32_e32 v4, v4, v8, vcc
	v_add_u32_e32 v8, 1, v4
	v_cmp_le_u32_e32 vcc, s18, v7
	v_cndmask_b32_e32 v7, v4, v8, vcc
	v_mov_b32_e32 v8, v3
.LBB0_6:                                ;   in Loop: Header=BB0_2 Depth=1
	s_or_b64 exec, exec, s[0:1]
	v_mul_lo_u32 v4, v8, s18
	v_mul_lo_u32 v11, v7, s19
	v_mad_u64_u32 v[9:10], s[0:1], v7, s18, 0
	s_load_dwordx2 s[0:1], s[6:7], 0x0
	s_add_u32 s14, s14, 1
	v_add3_u32 v4, v10, v11, v4
	v_sub_co_u32_e32 v5, vcc, v5, v9
	v_subb_co_u32_e32 v4, vcc, v6, v4, vcc
	s_waitcnt lgkmcnt(0)
	v_mul_lo_u32 v4, s0, v4
	v_mul_lo_u32 v6, s1, v5
	v_mad_u64_u32 v[1:2], s[0:1], s0, v5, v[1:2]
	s_addc_u32 s15, s15, 0
	s_add_u32 s6, s6, 8
	v_add3_u32 v2, v6, v2, v4
	v_mov_b32_e32 v4, s10
	v_mov_b32_e32 v5, s11
	s_addc_u32 s7, s7, 0
	v_cmp_ge_u64_e32 vcc, s[14:15], v[4:5]
	s_add_u32 s16, s16, 8
	s_addc_u32 s17, s17, 0
	s_cbranch_vccnz .LBB0_8
; %bb.7:                                ;   in Loop: Header=BB0_2 Depth=1
	v_mov_b32_e32 v5, v7
	v_mov_b32_e32 v6, v8
	s_branch .LBB0_2
.LBB0_8:
	s_lshl_b64 s[0:1], s[10:11], 3
	s_add_u32 s0, s12, s0
	s_addc_u32 s1, s13, s1
	s_load_dwordx2 s[6:7], s[0:1], 0x0
	s_load_dwordx2 s[10:11], s[4:5], 0x20
	v_mov_b32_e32 v16, 0
	v_mov_b32_e32 v15, 0
                                        ; implicit-def: $vgpr24
                                        ; implicit-def: $vgpr20
                                        ; implicit-def: $vgpr14
                                        ; implicit-def: $vgpr10
                                        ; implicit-def: $vgpr6
                                        ; implicit-def: $vgpr26
                                        ; implicit-def: $vgpr22
                                        ; implicit-def: $vgpr18
                                        ; implicit-def: $vgpr12
	s_waitcnt lgkmcnt(0)
	v_mad_u64_u32 v[1:2], s[0:1], s6, v7, v[1:2]
	s_mov_b32 s0, 0x3531ded
	v_mul_lo_u32 v3, s6, v8
	v_mul_lo_u32 v4, s7, v7
	v_mul_hi_u32 v5, v0, s0
	v_cmp_gt_u64_e32 vcc, s[10:11], v[7:8]
                                        ; implicit-def: $vgpr8
	v_add3_u32 v2, v4, v2, v3
	v_mul_u32_u24_e32 v3, 0x4d, v5
	v_sub_u32_e32 v4, v0, v3
	v_mov_b32_e32 v3, 0
	s_and_saveexec_b64 s[4:5], vcc
	s_cbranch_execz .LBB0_12
; %bb.9:
	v_cmp_gt_u32_e64 s[0:1], 49, v4
	v_mov_b32_e32 v15, 0
	v_mov_b32_e32 v16, 0
                                        ; implicit-def: $vgpr7
                                        ; implicit-def: $vgpr11
                                        ; implicit-def: $vgpr17
                                        ; implicit-def: $vgpr21
                                        ; implicit-def: $vgpr25
                                        ; implicit-def: $vgpr5
                                        ; implicit-def: $vgpr9
                                        ; implicit-def: $vgpr13
                                        ; implicit-def: $vgpr19
                                        ; implicit-def: $vgpr23
	s_and_saveexec_b64 s[6:7], s[0:1]
	s_cbranch_execz .LBB0_11
; %bb.10:
	v_lshlrev_b64 v[6:7], 3, v[1:2]
	v_mov_b32_e32 v5, 0
	v_mov_b32_e32 v0, s3
	v_add_co_u32_e64 v3, s[0:1], s2, v6
	v_lshlrev_b64 v[5:6], 3, v[4:5]
	v_addc_co_u32_e64 v0, s[0:1], v0, v7, s[0:1]
	v_add_co_u32_e64 v28, s[0:1], v3, v5
	v_addc_co_u32_e64 v29, s[0:1], v0, v6, s[0:1]
	global_load_dwordx2 v[15:16], v[28:29], off
	global_load_dwordx2 v[23:24], v[28:29], off offset:392
	global_load_dwordx2 v[19:20], v[28:29], off offset:784
	;; [unrolled: 1-line block ×10, first 2 shown]
.LBB0_11:
	s_or_b64 exec, exec, s[6:7]
	v_mov_b32_e32 v3, v4
.LBB0_12:
	s_or_b64 exec, exec, s[4:5]
	s_mov_b32 s0, 0xaaaaaaab
	v_mul_hi_u32 v0, v27, s0
	v_cmp_gt_u32_e64 s[0:1], 49, v4
	v_lshrrev_b32_e32 v0, 1, v0
	v_lshl_add_u32 v0, v0, 1, v0
	v_sub_u32_e32 v0, v27, v0
	v_mul_u32_u24_e32 v0, 0x21b, v0
	v_lshlrev_b32_e32 v0, 2, v0
	s_and_saveexec_b64 s[4:5], s[0:1]
	s_cbranch_execz .LBB0_14
; %bb.13:
	s_waitcnt vmcnt(0)
	v_add_f32_e32 v27, v23, v25
	v_sub_f32_e32 v28, v24, v26
	v_mul_f32_e32 v29, 0x3f575c64, v27
	v_add_f32_e32 v31, v19, v21
	v_mov_b32_e32 v30, v29
	v_fmac_f32_e32 v29, 0xbf0a6770, v28
	v_sub_f32_e32 v32, v20, v22
	v_mul_f32_e32 v33, 0x3ed4b147, v31
	v_add_f32_e32 v29, v15, v29
	v_mov_b32_e32 v34, v33
	v_fmac_f32_e32 v33, 0xbf68dda4, v32
	v_add_f32_e32 v29, v29, v33
	v_add_f32_e32 v33, v13, v17
	v_sub_f32_e32 v35, v14, v18
	v_mul_f32_e32 v36, 0xbe11bafb, v33
	v_mov_b32_e32 v37, v36
	v_fmac_f32_e32 v36, 0xbf7d64f0, v35
	v_add_f32_e32 v29, v29, v36
	v_add_f32_e32 v36, v9, v11
	v_sub_f32_e32 v38, v10, v12
	v_mul_f32_e32 v39, 0xbf27a4f4, v36
	;; [unrolled: 6-line block ×3, first 2 shown]
	v_mov_b32_e32 v43, v42
	v_fmac_f32_e32 v42, 0xbe903f40, v41
	v_add_f32_e32 v29, v29, v42
	v_add_f32_e32 v42, v15, v23
	v_add_f32_e32 v42, v42, v19
	v_add_f32_e32 v42, v42, v13
	v_add_f32_e32 v42, v42, v9
	v_add_f32_e32 v42, v42, v5
	v_add_f32_e32 v42, v42, v7
	v_add_f32_e32 v42, v11, v42
	v_add_f32_e32 v42, v17, v42
	v_add_f32_e32 v42, v21, v42
	v_mul_u32_u24_e32 v44, 44, v4
	v_add_f32_e32 v42, v25, v42
	v_add3_u32 v44, 0, v44, v0
	ds_write2_b32 v44, v42, v29 offset1:1
	v_mul_f32_e32 v29, 0xbe11bafb, v27
	v_mov_b32_e32 v42, v29
	v_fmac_f32_e32 v29, 0xbf7d64f0, v28
	v_mul_f32_e32 v45, 0xbf75a155, v31
	v_add_f32_e32 v29, v15, v29
	v_mov_b32_e32 v46, v45
	v_fmac_f32_e32 v45, 0x3e903f40, v32
	v_add_f32_e32 v29, v29, v45
	v_mul_f32_e32 v45, 0x3ed4b147, v33
	v_mov_b32_e32 v47, v45
	v_fmac_f32_e32 v45, 0x3f68dda4, v35
	v_add_f32_e32 v29, v29, v45
	v_mul_f32_e32 v45, 0x3f575c64, v36
	;; [unrolled: 4-line block ×4, first 2 shown]
	v_mov_b32_e32 v50, v45
	v_fmac_f32_e32 v45, 0xbf68dda4, v28
	v_mul_f32_e32 v51, 0xbf27a4f4, v31
	v_add_f32_e32 v45, v15, v45
	v_mov_b32_e32 v52, v51
	v_fmac_f32_e32 v51, 0xbf4178ce, v32
	v_add_f32_e32 v45, v45, v51
	v_mul_f32_e32 v51, 0xbf75a155, v33
	v_mov_b32_e32 v53, v51
	v_fmac_f32_e32 v51, 0x3e903f40, v35
	v_add_f32_e32 v45, v45, v51
	v_mul_f32_e32 v51, 0xbe11bafb, v36
	;; [unrolled: 4-line block ×3, first 2 shown]
	v_mov_b32_e32 v55, v51
	v_fmac_f32_e32 v51, 0x3f0a6770, v41
	v_add_f32_e32 v45, v45, v51
	ds_write2_b32 v44, v45, v29 offset0:2 offset1:3
	v_mul_f32_e32 v29, 0xbf75a155, v27
	v_mov_b32_e32 v45, v29
	v_fmac_f32_e32 v29, 0xbe903f40, v28
	v_mul_f32_e32 v51, 0x3f575c64, v31
	v_add_f32_e32 v29, v15, v29
	v_mov_b32_e32 v56, v51
	v_fmac_f32_e32 v51, 0x3f0a6770, v32
	v_add_f32_e32 v29, v29, v51
	v_mul_f32_e32 v51, 0xbf27a4f4, v33
	v_mov_b32_e32 v57, v51
	v_fmac_f32_e32 v51, 0xbf4178ce, v35
	v_add_f32_e32 v29, v29, v51
	v_mul_f32_e32 v51, 0x3ed4b147, v36
	;; [unrolled: 4-line block ×3, first 2 shown]
	v_mov_b32_e32 v59, v51
	v_fmac_f32_e32 v51, 0xbf7d64f0, v41
	v_mul_f32_e32 v27, 0xbf27a4f4, v27
	v_add_f32_e32 v29, v29, v51
	v_mul_f32_e32 v31, 0xbe11bafb, v31
	v_mov_b32_e32 v51, v27
	v_fmac_f32_e32 v27, 0xbf4178ce, v28
	v_add_f32_e32 v27, v15, v27
	v_mov_b32_e32 v60, v31
	v_fmac_f32_e32 v31, 0x3f7d64f0, v32
	v_add_f32_e32 v27, v27, v31
	v_mul_f32_e32 v31, 0x3f575c64, v33
	v_mov_b32_e32 v33, v31
	v_fmac_f32_e32 v31, 0xbf0a6770, v35
	v_add_f32_e32 v27, v27, v31
	v_mul_f32_e32 v31, 0xbf75a155, v36
	v_mov_b32_e32 v36, v31
	v_fmac_f32_e32 v31, 0xbe903f40, v38
	v_add_f32_e32 v27, v27, v31
	v_mul_f32_e32 v31, 0x3ed4b147, v39
	v_mov_b32_e32 v39, v31
	v_fmac_f32_e32 v31, 0x3f68dda4, v41
	v_add_f32_e32 v27, v27, v31
	v_fmac_f32_e32 v45, 0x3e903f40, v28
	v_fmac_f32_e32 v51, 0x3f4178ce, v28
	ds_write2_b32 v44, v27, v29 offset0:4 offset1:5
	v_add_f32_e32 v27, v15, v45
	v_fmac_f32_e32 v56, 0xbf0a6770, v32
	v_add_f32_e32 v29, v15, v51
	v_fmac_f32_e32 v60, 0xbf7d64f0, v32
	;; [unrolled: 2-line block ×8, first 2 shown]
	v_add_f32_e32 v27, v27, v59
	v_add_f32_e32 v29, v29, v39
	v_fmac_f32_e32 v42, 0x3f7d64f0, v28
	v_fmac_f32_e32 v50, 0x3f68dda4, v28
	;; [unrolled: 1-line block ×3, first 2 shown]
	ds_write2_b32 v44, v27, v29 offset0:6 offset1:7
	v_add_f32_e32 v27, v15, v42
	v_fmac_f32_e32 v46, 0xbe903f40, v32
	v_add_f32_e32 v29, v15, v50
	v_fmac_f32_e32 v52, 0x3f4178ce, v32
	v_fmac_f32_e32 v34, 0x3f68dda4, v32
	v_add_f32_e32 v15, v15, v30
	v_add_f32_e32 v27, v27, v46
	v_fmac_f32_e32 v47, 0xbf68dda4, v35
	v_add_f32_e32 v29, v29, v52
	v_fmac_f32_e32 v53, 0xbe903f40, v35
	;; [unrolled: 2-line block ×9, first 2 shown]
	v_add_f32_e32 v27, v27, v49
	v_add_f32_e32 v29, v29, v55
	;; [unrolled: 1-line block ×3, first 2 shown]
	ds_write2_b32 v44, v27, v29 offset0:8 offset1:9
	ds_write_b32 v44, v15 offset:40
.LBB0_14:
	s_or_b64 exec, exec, s[4:5]
	v_lshlrev_b32_e32 v27, 2, v4
	v_add_u32_e32 v37, 0, v27
	v_add_u32_e32 v33, v37, v0
	s_waitcnt vmcnt(10)
	v_add3_u32 v15, 0, v0, v27
	v_add_u32_e32 v34, 0x200, v33
	v_add_u32_e32 v35, 0x400, v33
	s_waitcnt vmcnt(0) lgkmcnt(0)
	s_barrier
	ds_read_b32 v36, v15
	ds_read2_b32 v[31:32], v33 offset0:77 offset1:154
	ds_read2_b32 v[29:30], v34 offset0:103 offset1:180
	;; [unrolled: 1-line block ×3, first 2 shown]
	s_waitcnt lgkmcnt(0)
	s_barrier
	s_and_saveexec_b64 s[4:5], s[0:1]
	s_cbranch_execz .LBB0_16
; %bb.15:
	v_add_f32_e32 v38, v16, v24
	v_add_f32_e32 v38, v38, v20
	;; [unrolled: 1-line block ×8, first 2 shown]
	v_sub_f32_e32 v23, v23, v25
	v_add_f32_e32 v38, v22, v38
	v_add_f32_e32 v24, v24, v26
	v_mul_f32_e32 v25, 0xbf0a6770, v23
	s_mov_b32 s0, 0x3f575c64
	v_mul_f32_e32 v39, 0xbf68dda4, v23
	s_mov_b32 s1, 0x3ed4b147
	;; [unrolled: 2-line block ×5, first 2 shown]
	v_sub_f32_e32 v19, v19, v21
	v_add_f32_e32 v38, v26, v38
	v_fma_f32 v26, v24, s0, -v25
	v_fmac_f32_e32 v25, 0x3f575c64, v24
	v_fma_f32 v40, v24, s1, -v39
	v_fmac_f32_e32 v39, 0x3ed4b147, v24
	;; [unrolled: 2-line block ×5, first 2 shown]
	v_add_f32_e32 v20, v20, v22
	v_mul_f32_e32 v21, 0xbf68dda4, v19
	v_add_f32_e32 v26, v16, v26
	v_add_f32_e32 v25, v16, v25
	;; [unrolled: 1-line block ×10, first 2 shown]
	v_fma_f32 v22, v20, s1, -v21
	v_fmac_f32_e32 v21, 0x3ed4b147, v20
	v_mul_f32_e32 v23, 0xbf4178ce, v19
	v_add_f32_e32 v21, v25, v21
	v_fma_f32 v24, v20, s7, -v23
	v_fmac_f32_e32 v23, 0xbf27a4f4, v20
	v_mul_f32_e32 v25, 0x3e903f40, v19
	v_add_f32_e32 v22, v26, v22
	v_add_f32_e32 v23, v39, v23
	v_fma_f32 v26, v20, s10, -v25
	v_fmac_f32_e32 v25, 0xbf75a155, v20
	v_mul_f32_e32 v39, 0x3f7d64f0, v19
	v_mul_f32_e32 v19, 0x3f0a6770, v19
	v_sub_f32_e32 v13, v13, v17
	v_add_f32_e32 v25, v41, v25
	v_fma_f32 v41, v20, s0, -v19
	v_fmac_f32_e32 v19, 0x3f575c64, v20
	v_add_f32_e32 v14, v14, v18
	v_mul_f32_e32 v17, 0xbf7d64f0, v13
	v_add_f32_e32 v16, v16, v19
	v_fma_f32 v18, v14, s6, -v17
	v_fmac_f32_e32 v17, 0xbe11bafb, v14
	v_mul_f32_e32 v19, 0x3e903f40, v13
	v_add_f32_e32 v24, v40, v24
	v_fma_f32 v40, v20, s6, -v39
	v_fmac_f32_e32 v39, 0xbe11bafb, v20
	v_add_f32_e32 v17, v21, v17
	v_fma_f32 v20, v14, s10, -v19
	v_fmac_f32_e32 v19, 0xbf75a155, v14
	v_mul_f32_e32 v21, 0x3f68dda4, v13
	v_sub_f32_e32 v9, v9, v11
	v_add_f32_e32 v18, v22, v18
	v_add_f32_e32 v19, v23, v19
	v_fma_f32 v22, v14, s1, -v21
	v_fmac_f32_e32 v21, 0x3ed4b147, v14
	v_mul_f32_e32 v23, 0xbf0a6770, v13
	v_mul_f32_e32 v13, 0xbf4178ce, v13
	v_add_f32_e32 v10, v10, v12
	v_mul_f32_e32 v11, 0xbf4178ce, v9
	v_add_f32_e32 v20, v24, v20
	v_add_f32_e32 v21, v25, v21
	v_fma_f32 v24, v14, s0, -v23
	v_fmac_f32_e32 v23, 0x3f575c64, v14
	v_fma_f32 v25, v14, s7, -v13
	v_fmac_f32_e32 v13, 0xbf27a4f4, v14
	;; [unrolled: 2-line block ×3, first 2 shown]
	v_mul_f32_e32 v14, 0x3f7d64f0, v9
	v_add_f32_e32 v13, v16, v13
	v_add_f32_e32 v11, v17, v11
	v_fma_f32 v16, v10, s6, -v14
	v_fmac_f32_e32 v14, 0xbe11bafb, v10
	v_mul_f32_e32 v17, 0xbf0a6770, v9
	v_sub_f32_e32 v5, v5, v7
	v_add_f32_e32 v12, v18, v12
	v_add_f32_e32 v14, v19, v14
	v_fma_f32 v18, v10, s0, -v17
	v_fmac_f32_e32 v17, 0x3f575c64, v10
	v_mul_f32_e32 v19, 0xbe903f40, v9
	v_mul_f32_e32 v9, 0x3f68dda4, v9
	v_add_f32_e32 v6, v6, v8
	v_mul_f32_e32 v7, 0xbe903f40, v5
	v_add_f32_e32 v16, v20, v16
	v_add_f32_e32 v17, v21, v17
	v_fma_f32 v20, v10, s10, -v19
	v_fmac_f32_e32 v19, 0xbf75a155, v10
	v_fma_f32 v21, v10, s1, -v9
	v_fmac_f32_e32 v9, 0x3ed4b147, v10
	;; [unrolled: 2-line block ×3, first 2 shown]
	v_mul_f32_e32 v10, 0x3f0a6770, v5
	v_add_f32_e32 v8, v12, v8
	v_add_f32_e32 v7, v11, v7
	v_fma_f32 v11, v6, s0, -v10
	v_fmac_f32_e32 v10, 0x3f575c64, v6
	v_mul_f32_e32 v12, 0xbf4178ce, v5
	v_add_f32_e32 v26, v42, v26
	v_add_f32_e32 v40, v44, v40
	;; [unrolled: 1-line block ×6, first 2 shown]
	v_fma_f32 v13, v6, s7, -v12
	v_fmac_f32_e32 v12, 0xbf27a4f4, v6
	v_mul_f32_e32 v14, 0x3f68dda4, v5
	v_mul_f32_e32 v5, 0xbf7d64f0, v5
	v_add_f32_e32 v22, v26, v22
	v_add_f32_e32 v24, v40, v24
	v_add_f32_e32 v23, v39, v23
	v_add_f32_e32 v25, v41, v25
	v_add_f32_e32 v11, v16, v11
	v_add_f32_e32 v12, v17, v12
	v_fma_f32 v16, v6, s1, -v14
	v_fmac_f32_e32 v14, 0x3ed4b147, v6
	v_fma_f32 v17, v6, s6, -v5
	v_fmac_f32_e32 v5, 0xbe11bafb, v6
	v_mul_u32_u24_e32 v6, 40, v4
	v_add_f32_e32 v18, v22, v18
	v_add_f32_e32 v20, v24, v20
	v_add_f32_e32 v19, v23, v19
	v_add_f32_e32 v21, v25, v21
	v_add3_u32 v6, v37, v6, v0
	v_add_f32_e32 v13, v18, v13
	v_add_f32_e32 v16, v20, v16
	;; [unrolled: 1-line block ×5, first 2 shown]
	ds_write2_b32 v6, v38, v8 offset1:1
	ds_write2_b32 v6, v11, v13 offset0:2 offset1:3
	ds_write2_b32 v6, v16, v17 offset0:4 offset1:5
	;; [unrolled: 1-line block ×4, first 2 shown]
	ds_write_b32 v6, v7 offset:40
.LBB0_16:
	s_or_b64 exec, exec, s[4:5]
	s_movk_i32 s0, 0x75
	v_mul_lo_u16_sdwa v5, v4, s0 dst_sel:DWORD dst_unused:UNUSED_PAD src0_sel:BYTE_0 src1_sel:DWORD
	v_sub_u16_sdwa v6, v4, v5 dst_sel:DWORD dst_unused:UNUSED_PAD src0_sel:DWORD src1_sel:BYTE_1
	v_lshrrev_b16_e32 v6, 1, v6
	v_and_b32_e32 v6, 0x7f, v6
	v_add_u16_sdwa v5, v6, v5 dst_sel:DWORD dst_unused:UNUSED_PAD src0_sel:DWORD src1_sel:BYTE_1
	v_lshrrev_b16_e32 v24, 3, v5
	v_mul_lo_u16_e32 v5, 11, v24
	v_sub_u16_e32 v25, v4, v5
	v_mov_b32_e32 v5, 6
	v_mul_u32_u24_sdwa v5, v25, v5 dst_sel:DWORD dst_unused:UNUSED_PAD src0_sel:BYTE_0 src1_sel:DWORD
	v_lshlrev_b32_e32 v13, 3, v5
	s_waitcnt lgkmcnt(0)
	s_barrier
	global_load_dwordx4 v[5:8], v13, s[8:9]
	global_load_dwordx4 v[9:12], v13, s[8:9] offset:16
	global_load_dwordx4 v[16:19], v13, s[8:9] offset:32
	ds_read_b32 v26, v15
	ds_read2_b32 v[13:14], v33 offset0:77 offset1:154
	ds_read2_b32 v[20:21], v34 offset0:103 offset1:180
	;; [unrolled: 1-line block ×3, first 2 shown]
	s_mov_b32 s1, 0x3f3bfb3b
	s_mov_b32 s4, 0xbf3bfb3b
	;; [unrolled: 1-line block ×4, first 2 shown]
	s_movk_i32 s6, 0x134
	s_waitcnt vmcnt(0) lgkmcnt(0)
	s_barrier
	v_mul_f32_e32 v37, v13, v6
	v_mul_f32_e32 v6, v31, v6
	;; [unrolled: 1-line block ×12, first 2 shown]
	v_fmac_f32_e32 v37, v31, v5
	v_fma_f32 v5, v13, v5, -v6
	v_fmac_f32_e32 v38, v32, v7
	v_fma_f32 v6, v14, v7, -v8
	v_fma_f32 v7, v20, v9, -v10
	v_fmac_f32_e32 v41, v27, v16
	v_fmac_f32_e32 v42, v28, v18
	v_fma_f32 v10, v23, v18, -v19
	v_fmac_f32_e32 v39, v29, v9
	v_fmac_f32_e32 v40, v30, v11
	v_fma_f32 v8, v21, v11, -v12
	v_fma_f32 v9, v22, v16, -v17
	v_add_f32_e32 v11, v37, v42
	v_add_f32_e32 v12, v5, v10
	v_sub_f32_e32 v5, v5, v10
	v_add_f32_e32 v10, v38, v41
	v_add_f32_e32 v14, v6, v9
	v_sub_f32_e32 v6, v6, v9
	;; [unrolled: 3-line block ×4, first 2 shown]
	v_sub_f32_e32 v11, v11, v9
	v_sub_f32_e32 v10, v9, v10
	v_add_f32_e32 v8, v9, v8
	v_sub_f32_e32 v16, v38, v41
	v_sub_f32_e32 v18, v40, v39
	;; [unrolled: 1-line block ×5, first 2 shown]
	v_add_f32_e32 v23, v7, v6
	v_sub_f32_e32 v28, v7, v6
	v_sub_f32_e32 v6, v6, v5
	v_add_f32_e32 v9, v17, v19
	v_mul_f32_e32 v11, 0x3f4a47b2, v11
	v_mul_f32_e32 v17, 0x3d64c772, v10
	v_add_f32_e32 v29, v36, v8
	v_sub_f32_e32 v13, v37, v42
	v_add_f32_e32 v22, v18, v16
	v_sub_f32_e32 v27, v18, v16
	v_sub_f32_e32 v7, v5, v7
	v_add_f32_e32 v5, v23, v5
	v_mul_f32_e32 v23, 0x3f08b237, v28
	v_mul_f32_e32 v28, 0xbf5ff5aa, v6
	v_add_f32_e32 v26, v26, v9
	v_fma_f32 v17, v20, s1, -v17
	v_fma_f32 v20, v20, s4, -v11
	v_fmac_f32_e32 v11, 0x3d64c772, v10
	v_mov_b32_e32 v10, v29
	v_sub_f32_e32 v18, v13, v18
	v_sub_f32_e32 v16, v16, v13
	v_add_f32_e32 v13, v22, v13
	v_mul_f32_e32 v19, 0x3d64c772, v14
	v_mul_f32_e32 v22, 0x3f08b237, v27
	v_mov_b32_e32 v30, v26
	v_fmac_f32_e32 v10, 0xbf955555, v8
	v_fma_f32 v6, v6, s0, -v23
	v_fmac_f32_e32 v23, 0xbeae86e6, v7
	v_fma_f32 v7, v7, s5, -v28
	v_mul_f32_e32 v12, 0x3f4a47b2, v12
	v_mul_f32_e32 v27, 0xbf5ff5aa, v16
	v_fma_f32 v19, v21, s1, -v19
	v_fmac_f32_e32 v30, 0xbf955555, v9
	v_fma_f32 v9, v16, s0, -v22
	v_add_f32_e32 v11, v11, v10
	v_add_f32_e32 v16, v17, v10
	;; [unrolled: 1-line block ×3, first 2 shown]
	v_fmac_f32_e32 v7, 0xbee1c552, v5
	v_fma_f32 v8, v21, s4, -v12
	v_fmac_f32_e32 v12, 0x3d64c772, v14
	v_fmac_f32_e32 v22, 0xbeae86e6, v18
	v_fma_f32 v14, v18, s5, -v27
	v_add_f32_e32 v17, v19, v30
	v_fmac_f32_e32 v9, 0xbee1c552, v13
	v_fmac_f32_e32 v6, 0xbee1c552, v5
	v_add_f32_e32 v18, v7, v10
	v_sub_f32_e32 v7, v10, v7
	v_mov_b32_e32 v10, 2
	v_add_f32_e32 v12, v12, v30
	v_add_f32_e32 v8, v8, v30
	v_fmac_f32_e32 v22, 0xbee1c552, v13
	v_fmac_f32_e32 v23, 0xbee1c552, v5
	;; [unrolled: 1-line block ×3, first 2 shown]
	v_sub_f32_e32 v20, v16, v6
	v_add_f32_e32 v21, v9, v17
	v_add_f32_e32 v6, v6, v16
	v_sub_f32_e32 v16, v17, v9
	v_mad_u32_u24 v9, v24, s6, 0
	v_lshlrev_b32_sdwa v10, v10, v25 dst_sel:DWORD dst_unused:UNUSED_PAD src0_sel:DWORD src1_sel:BYTE_0
	v_add_f32_e32 v5, v23, v11
	v_sub_f32_e32 v13, v12, v22
	v_sub_f32_e32 v19, v8, v14
	v_add_f32_e32 v14, v14, v8
	v_sub_f32_e32 v8, v11, v23
	v_add_f32_e32 v11, v22, v12
	v_add3_u32 v12, v9, v10, v0
	ds_write2_b32 v12, v29, v5 offset1:11
	ds_write2_b32 v12, v18, v20 offset0:22 offset1:33
	ds_write2_b32 v12, v6, v7 offset0:44 offset1:55
	ds_write_b32 v12, v8 offset:264
	s_waitcnt lgkmcnt(0)
	s_barrier
	ds_read_b32 v0, v15
	ds_read2_b32 v[5:6], v33 offset0:77 offset1:154
	ds_read2_b32 v[7:8], v34 offset0:103 offset1:180
	;; [unrolled: 1-line block ×3, first 2 shown]
	s_waitcnt lgkmcnt(0)
	s_barrier
	ds_write2_b32 v12, v26, v13 offset1:11
	ds_write2_b32 v12, v19, v21 offset0:22 offset1:33
	ds_write2_b32 v12, v16, v14 offset0:44 offset1:55
	ds_write_b32 v12, v11 offset:264
	s_waitcnt lgkmcnt(0)
	s_barrier
	s_and_saveexec_b64 s[6:7], vcc
	s_cbranch_execz .LBB0_18
; %bb.17:
	v_mul_u32_u24_e32 v4, 6, v4
	v_lshlrev_b32_e32 v4, 3, v4
	global_load_dwordx4 v[11:14], v4, s[8:9] offset:528
	global_load_dwordx4 v[16:19], v4, s[8:9] offset:560
	;; [unrolled: 1-line block ×3, first 2 shown]
	v_add_u32_e32 v28, 0x200, v33
	ds_read2_b32 v[24:25], v33 offset0:77 offset1:154
	v_add_u32_e32 v4, 0x400, v33
	ds_read_b32 v15, v15
	ds_read2_b32 v[26:27], v4 offset0:129 offset1:206
	ds_read2_b32 v[28:29], v28 offset0:103 offset1:180
	s_waitcnt vmcnt(2)
	v_mul_f32_e32 v4, v5, v11
	s_waitcnt vmcnt(1)
	v_mul_f32_e32 v30, v10, v18
	;; [unrolled: 2-line block ×3, first 2 shown]
	v_mul_f32_e32 v32, v7, v20
	v_mul_f32_e32 v33, v6, v13
	;; [unrolled: 1-line block ×9, first 2 shown]
	s_waitcnt lgkmcnt(3)
	v_fmac_f32_e32 v4, v24, v12
	s_waitcnt lgkmcnt(1)
	v_fmac_f32_e32 v30, v27, v19
	;; [unrolled: 2-line block ×3, first 2 shown]
	v_fmac_f32_e32 v32, v28, v21
	v_fmac_f32_e32 v33, v25, v14
	;; [unrolled: 1-line block ×3, first 2 shown]
	v_fma_f32 v10, v27, v18, -v10
	v_fma_f32 v5, v24, v11, -v5
	;; [unrolled: 1-line block ×6, first 2 shown]
	v_sub_f32_e32 v11, v4, v30
	v_sub_f32_e32 v12, v31, v32
	;; [unrolled: 1-line block ×3, first 2 shown]
	v_add_f32_e32 v14, v5, v10
	v_add_f32_e32 v17, v6, v9
	;; [unrolled: 1-line block ×6, first 2 shown]
	v_sub_f32_e32 v20, v5, v10
	v_sub_f32_e32 v5, v8, v7
	;; [unrolled: 1-line block ×3, first 2 shown]
	v_add_f32_e32 v8, v12, v13
	v_add_f32_e32 v21, v14, v17
	v_sub_f32_e32 v23, v18, v19
	v_add_f32_e32 v24, v4, v19
	v_sub_f32_e32 v7, v11, v12
	v_sub_f32_e32 v6, v12, v13
	;; [unrolled: 1-line block ×5, first 2 shown]
	v_add_f32_e32 v5, v5, v9
	v_sub_f32_e32 v13, v13, v11
	v_add_f32_e32 v11, v11, v8
	v_add_f32_e32 v8, v16, v21
	v_mul_f32_e32 v21, 0x3d64c772, v23
	v_add_f32_e32 v18, v18, v24
	v_mul_f32_e32 v27, 0x3f08b237, v6
	v_add_f32_e32 v24, v20, v5
	v_add_f32_e32 v6, v15, v8
	v_mov_b32_e32 v15, v21
	v_add_f32_e32 v5, v0, v18
	v_sub_f32_e32 v10, v14, v16
	v_sub_f32_e32 v12, v16, v17
	v_mul_f32_e32 v16, 0x3f4a47b2, v22
	v_fmac_f32_e32 v15, 0x3f4a47b2, v22
	v_mov_b32_e32 v22, v5
	v_sub_f32_e32 v4, v19, v4
	v_fmac_f32_e32 v22, 0xbf955555, v18
	v_fma_f32 v16, v4, s4, -v16
	v_mul_f32_e32 v12, 0x3d64c772, v12
	v_mul_f32_e32 v23, 0x3f08b237, v26
	v_sub_f32_e32 v14, v17, v14
	v_add_f32_e32 v17, v16, v22
	v_sub_f32_e32 v16, v9, v20
	v_mul_f32_e32 v28, 0x3f4a47b2, v10
	v_mul_f32_e32 v26, 0xbf5ff5aa, v13
	v_mov_b32_e32 v30, v12
	v_mov_b32_e32 v0, v23
	;; [unrolled: 1-line block ×3, first 2 shown]
	v_mul_f32_e32 v9, 0xbf5ff5aa, v16
	v_mov_b32_e32 v29, v27
	v_fma_f32 v26, v7, s5, -v26
	v_fmac_f32_e32 v30, 0x3f4a47b2, v10
	v_fmac_f32_e32 v0, 0xbeae86e6, v25
	v_fmac_f32_e32 v31, 0xbf955555, v8
	v_fma_f32 v10, v14, s4, -v28
	v_fma_f32 v19, v25, s5, -v9
	;; [unrolled: 1-line block ×6, first 2 shown]
	v_fmac_f32_e32 v29, 0xbeae86e6, v7
	v_fmac_f32_e32 v0, 0xbee1c552, v24
	v_add_f32_e32 v18, v30, v31
	v_add_f32_e32 v30, v15, v22
	v_fmac_f32_e32 v26, 0xbee1c552, v11
	v_add_f32_e32 v15, v10, v31
	v_fmac_f32_e32 v19, 0xbee1c552, v24
	;; [unrolled: 2-line block ×3, first 2 shown]
	v_fmac_f32_e32 v16, 0xbee1c552, v24
	v_add_f32_e32 v4, v4, v22
	v_fmac_f32_e32 v29, 0xbee1c552, v11
	v_sub_f32_e32 v7, v30, v0
	v_add_f32_e32 v10, v26, v15
	v_sub_f32_e32 v9, v17, v19
	v_sub_f32_e32 v12, v14, v13
	v_add_f32_e32 v11, v16, v4
	v_add_f32_e32 v14, v13, v14
	v_sub_f32_e32 v13, v4, v16
	v_sub_f32_e32 v16, v15, v26
	v_add_f32_e32 v15, v19, v17
	v_add_f32_e32 v17, v0, v30
	v_lshlrev_b64 v[0:1], 3, v[1:2]
	v_mov_b32_e32 v4, 0
	v_mov_b32_e32 v2, s3
	v_add_co_u32_e32 v19, vcc, s2, v0
	v_addc_co_u32_e32 v2, vcc, v2, v1, vcc
	v_lshlrev_b64 v[0:1], 3, v[3:4]
	v_add_f32_e32 v8, v29, v18
	v_add_co_u32_e32 v0, vcc, v19, v0
	v_addc_co_u32_e32 v1, vcc, v2, v1, vcc
	v_sub_f32_e32 v18, v18, v29
	global_store_dwordx2 v[0:1], v[5:6], off
	global_store_dwordx2 v[0:1], v[17:18], off offset:616
	global_store_dwordx2 v[0:1], v[15:16], off offset:1232
	;; [unrolled: 1-line block ×6, first 2 shown]
.LBB0_18:
	s_endpgm
	.section	.rodata,"a",@progbits
	.p2align	6, 0x0
	.amdhsa_kernel fft_rtc_back_len539_factors_11_7_7_wgs_231_tpt_77_halfLds_sp_ip_CI_unitstride_sbrr_dirReg
		.amdhsa_group_segment_fixed_size 0
		.amdhsa_private_segment_fixed_size 0
		.amdhsa_kernarg_size 88
		.amdhsa_user_sgpr_count 6
		.amdhsa_user_sgpr_private_segment_buffer 1
		.amdhsa_user_sgpr_dispatch_ptr 0
		.amdhsa_user_sgpr_queue_ptr 0
		.amdhsa_user_sgpr_kernarg_segment_ptr 1
		.amdhsa_user_sgpr_dispatch_id 0
		.amdhsa_user_sgpr_flat_scratch_init 0
		.amdhsa_user_sgpr_private_segment_size 0
		.amdhsa_uses_dynamic_stack 0
		.amdhsa_system_sgpr_private_segment_wavefront_offset 0
		.amdhsa_system_sgpr_workgroup_id_x 1
		.amdhsa_system_sgpr_workgroup_id_y 0
		.amdhsa_system_sgpr_workgroup_id_z 0
		.amdhsa_system_sgpr_workgroup_info 0
		.amdhsa_system_vgpr_workitem_id 0
		.amdhsa_next_free_vgpr 61
		.amdhsa_next_free_sgpr 22
		.amdhsa_reserve_vcc 1
		.amdhsa_reserve_flat_scratch 0
		.amdhsa_float_round_mode_32 0
		.amdhsa_float_round_mode_16_64 0
		.amdhsa_float_denorm_mode_32 3
		.amdhsa_float_denorm_mode_16_64 3
		.amdhsa_dx10_clamp 1
		.amdhsa_ieee_mode 1
		.amdhsa_fp16_overflow 0
		.amdhsa_exception_fp_ieee_invalid_op 0
		.amdhsa_exception_fp_denorm_src 0
		.amdhsa_exception_fp_ieee_div_zero 0
		.amdhsa_exception_fp_ieee_overflow 0
		.amdhsa_exception_fp_ieee_underflow 0
		.amdhsa_exception_fp_ieee_inexact 0
		.amdhsa_exception_int_div_zero 0
	.end_amdhsa_kernel
	.text
.Lfunc_end0:
	.size	fft_rtc_back_len539_factors_11_7_7_wgs_231_tpt_77_halfLds_sp_ip_CI_unitstride_sbrr_dirReg, .Lfunc_end0-fft_rtc_back_len539_factors_11_7_7_wgs_231_tpt_77_halfLds_sp_ip_CI_unitstride_sbrr_dirReg
                                        ; -- End function
	.section	.AMDGPU.csdata,"",@progbits
; Kernel info:
; codeLenInByte = 5180
; NumSgprs: 26
; NumVgprs: 61
; ScratchSize: 0
; MemoryBound: 0
; FloatMode: 240
; IeeeMode: 1
; LDSByteSize: 0 bytes/workgroup (compile time only)
; SGPRBlocks: 3
; VGPRBlocks: 15
; NumSGPRsForWavesPerEU: 26
; NumVGPRsForWavesPerEU: 61
; Occupancy: 4
; WaveLimiterHint : 1
; COMPUTE_PGM_RSRC2:SCRATCH_EN: 0
; COMPUTE_PGM_RSRC2:USER_SGPR: 6
; COMPUTE_PGM_RSRC2:TRAP_HANDLER: 0
; COMPUTE_PGM_RSRC2:TGID_X_EN: 1
; COMPUTE_PGM_RSRC2:TGID_Y_EN: 0
; COMPUTE_PGM_RSRC2:TGID_Z_EN: 0
; COMPUTE_PGM_RSRC2:TIDIG_COMP_CNT: 0
	.type	__hip_cuid_47ffe4eff1aad44a,@object ; @__hip_cuid_47ffe4eff1aad44a
	.section	.bss,"aw",@nobits
	.globl	__hip_cuid_47ffe4eff1aad44a
__hip_cuid_47ffe4eff1aad44a:
	.byte	0                               ; 0x0
	.size	__hip_cuid_47ffe4eff1aad44a, 1

	.ident	"AMD clang version 19.0.0git (https://github.com/RadeonOpenCompute/llvm-project roc-6.4.0 25133 c7fe45cf4b819c5991fe208aaa96edf142730f1d)"
	.section	".note.GNU-stack","",@progbits
	.addrsig
	.addrsig_sym __hip_cuid_47ffe4eff1aad44a
	.amdgpu_metadata
---
amdhsa.kernels:
  - .args:
      - .actual_access:  read_only
        .address_space:  global
        .offset:         0
        .size:           8
        .value_kind:     global_buffer
      - .offset:         8
        .size:           8
        .value_kind:     by_value
      - .actual_access:  read_only
        .address_space:  global
        .offset:         16
        .size:           8
        .value_kind:     global_buffer
      - .actual_access:  read_only
        .address_space:  global
        .offset:         24
        .size:           8
        .value_kind:     global_buffer
      - .offset:         32
        .size:           8
        .value_kind:     by_value
      - .actual_access:  read_only
        .address_space:  global
        .offset:         40
        .size:           8
        .value_kind:     global_buffer
      - .actual_access:  read_only
        .address_space:  global
        .offset:         48
        .size:           8
        .value_kind:     global_buffer
      - .offset:         56
        .size:           4
        .value_kind:     by_value
      - .actual_access:  read_only
        .address_space:  global
        .offset:         64
        .size:           8
        .value_kind:     global_buffer
      - .actual_access:  read_only
        .address_space:  global
        .offset:         72
        .size:           8
        .value_kind:     global_buffer
      - .address_space:  global
        .offset:         80
        .size:           8
        .value_kind:     global_buffer
    .group_segment_fixed_size: 0
    .kernarg_segment_align: 8
    .kernarg_segment_size: 88
    .language:       OpenCL C
    .language_version:
      - 2
      - 0
    .max_flat_workgroup_size: 231
    .name:           fft_rtc_back_len539_factors_11_7_7_wgs_231_tpt_77_halfLds_sp_ip_CI_unitstride_sbrr_dirReg
    .private_segment_fixed_size: 0
    .sgpr_count:     26
    .sgpr_spill_count: 0
    .symbol:         fft_rtc_back_len539_factors_11_7_7_wgs_231_tpt_77_halfLds_sp_ip_CI_unitstride_sbrr_dirReg.kd
    .uniform_work_group_size: 1
    .uses_dynamic_stack: false
    .vgpr_count:     61
    .vgpr_spill_count: 0
    .wavefront_size: 64
amdhsa.target:   amdgcn-amd-amdhsa--gfx906
amdhsa.version:
  - 1
  - 2
...

	.end_amdgpu_metadata
